;; amdgpu-corpus repo=ROCm/rocm-examples kind=compiled arch=gfx90a opt=O3
	.text
	.amdgcn_target "amdgcn-amd-amdhsa--gfx90a"
	.amdhsa_code_object_version 6
	.protected	_Z21float_to_fp8_to_floatPf26__hip_fp8_interpretation_t18__hip_saturation_tS_m ; -- Begin function _Z21float_to_fp8_to_floatPf26__hip_fp8_interpretation_t18__hip_saturation_tS_m
	.globl	_Z21float_to_fp8_to_floatPf26__hip_fp8_interpretation_t18__hip_saturation_tS_m
	.p2align	8
	.type	_Z21float_to_fp8_to_floatPf26__hip_fp8_interpretation_t18__hip_saturation_tS_m,@function
_Z21float_to_fp8_to_floatPf26__hip_fp8_interpretation_t18__hip_saturation_tS_m: ; @_Z21float_to_fp8_to_floatPf26__hip_fp8_interpretation_t18__hip_saturation_tS_m
; %bb.0:
	s_load_dwordx4 s[8:11], s[4:5], 0x10
	v_mov_b32_e32 v1, 0
	s_waitcnt lgkmcnt(0)
	v_cmp_gt_u64_e32 vcc, s[10:11], v[0:1]
	s_and_saveexec_b64 s[0:1], vcc
	s_cbranch_execz .LBB0_61
; %bb.1:
	s_load_dwordx4 s[4:7], s[4:5], 0x0
	v_lshlrev_b32_e32 v4, 2, v0
	s_movk_i32 s2, 0x80
	s_waitcnt lgkmcnt(0)
	global_load_dword v7, v4, s[4:5]
	s_and_b32 s3, s6, -2
	s_cmp_eq_u32 s7, 1
	s_cselect_b64 s[0:1], -1, 0
	s_cmp_lg_u32 s7, 1
	s_cselect_b64 s[14:15], -1, 0
	s_cmp_lg_u32 s3, 2
	s_waitcnt vmcnt(0)
	v_and_b32_e32 v0, 0x7fffff, v7
	v_bfe_u32 v6, v7, 23, 8
	v_and_b32_sdwa v5, v7, s2 dst_sel:DWORD dst_unused:UNUSED_PAD src0_sel:BYTE_3 src1_sel:DWORD
	s_cbranch_scc0 .LBB0_16
; %bb.2:
	s_and_b64 s[2:3], s[0:1], exec
	s_movk_i32 s4, 0x7b
	s_movk_i32 s2, 0x7e
	s_cselect_b32 s7, s4, 0x7c
	s_cselect_b32 s10, s2, 0x7f
	s_cmp_eq_u32 s6, 0
	s_cselect_b64 s[2:3], -1, 0
	s_and_b64 s[4:5], s[2:3], exec
	s_cselect_b32 s4, s10, s7
	v_or_b32_e32 v9, s4, v5
	v_and_b32_e32 v2, 0x7f800000, v7
	v_mov_b32_e32 v3, 0
	s_mov_b64 s[4:5], 0x7f800000
	s_mov_b32 s11, 0
	v_cmp_ne_u64_e32 vcc, s[4:5], v[2:3]
                                        ; implicit-def: $vgpr8
	s_and_saveexec_b64 s[4:5], vcc
	s_xor_b64 s[4:5], exec, s[4:5]
	s_cbranch_execz .LBB0_33
; %bb.3:
	s_mov_b32 s7, 0x43e00000
	s_and_b64 s[12:13], s[2:3], exec
	s_cselect_b32 s10, s7, 0x47600000
	v_and_b32_e32 v2, 0x7fffffff, v7
	v_cmp_ge_u64_e32 vcc, s[10:11], v[2:3]
                                        ; implicit-def: $vgpr8
	s_and_saveexec_b64 s[10:11], vcc
	s_xor_b64 s[10:11], exec, s[10:11]
	s_cbranch_execz .LBB0_30
; %bb.4:
	v_cmp_ne_u32_e32 vcc, 0, v7
	v_mov_b32_e32 v8, 0
	s_and_saveexec_b64 s[12:13], vcc
	s_cbranch_execz .LBB0_29
; %bb.5:
	s_and_b64 s[16:17], s[2:3], exec
	s_cselect_b32 s18, 4, 5
	s_add_i32 s7, s18, -1
	s_lshl_b32 s19, -1, s7
	v_cmp_ne_u32_e32 vcc, 0, v6
                                        ; implicit-def: $vgpr2_vgpr3
                                        ; implicit-def: $vgpr10
                                        ; implicit-def: $vgpr8
	s_and_saveexec_b64 s[16:17], vcc
	s_xor_b64 s[16:17], exec, s[16:17]
; %bb.6:
	s_add_i32 s7, s19, 2
	v_add_u32_e32 v8, 0xffffff81, v6
	v_sub_u32_e32 v2, s7, v8
	v_cmp_ge_i32_e32 vcc, s7, v8
	v_cndmask_b32_e32 v10, 0, v2, vcc
	v_or_b32_e32 v2, 0x800000, v0
	v_mov_b32_e32 v3, v1
; %bb.7:
	s_andn2_saveexec_b64 s[16:17], s[16:17]
; %bb.8:
	s_add_i32 s7, s19, 0x80
	v_mov_b32_e32 v8, 0xffffff82
	v_mov_b32_e32 v10, s7
	v_pk_mov_b32 v[2:3], v[0:1], v[0:1] op_sel:[0,1]
; %bb.9:
	s_or_b64 exec, exec, s[16:17]
	s_and_b64 s[2:3], s[2:3], exec
	s_cselect_b32 s7, 3, 2
	s_xor_b32 s16, s7, 23
	v_add_u32_e32 v11, s16, v10
	v_lshlrev_b64 v[12:13], v11, -1
	v_not_b32_e32 v13, v13
	v_not_b32_e32 v12, v12
	v_add_u32_e32 v11, -1, v11
	v_cmp_eq_u32_e64 s[2:3], -1, v10
	v_and_b32_e32 v13, v3, v13
	v_and_b32_e32 v12, v2, v12
	v_lshlrev_b64 v[14:15], v11, 1
	v_cndmask_b32_e64 v11, 0, 1, s[2:3]
	v_cmp_eq_u64_e32 vcc, v[12:13], v[14:15]
	v_lshrrev_b64 v[12:13], v10, v[2:3]
	v_lshlrev_b64 v[2:3], v11, v[2:3]
	v_cmp_lt_i32_e64 s[2:3], 0, v10
	v_cndmask_b32_e64 v12, v2, v12, s[2:3]
	v_cndmask_b32_e64 v13, v3, v13, s[2:3]
	v_xad_u32 v2, s19, -1, v8
	v_bfe_u32 v3, v12, 23, 1
	s_lshl_b64 s[2:3], 1, s16
	v_add3_u32 v8, v2, v10, v3
	s_add_u32 s17, s2, -1
	v_and_b32_e32 v3, s3, v13
	v_and_b32_e32 v2, s2, v12
	s_addc_u32 s19, s3, -1
	v_cmp_eq_u64_e64 s[2:3], 0, v[2:3]
	s_and_b64 s[2:3], vcc, s[2:3]
	v_cndmask_b32_e64 v2, 0, 1, s[2:3]
	v_sub_co_u32_e32 v2, vcc, v12, v2
	v_subbrev_co_u32_e32 v3, vcc, 0, v13, vcc
	v_and_b32_e32 v2, s17, v2
	v_and_b32_e32 v3, s19, v3
	v_add_co_u32_e32 v2, vcc, v2, v12
	v_add_u32_e32 v11, -1, v8
	v_addc_co_u32_e32 v3, vcc, v3, v13, vcc
	v_cmp_ne_u32_e32 vcc, 0, v11
                                        ; implicit-def: $vgpr10
	s_and_saveexec_b64 s[2:3], vcc
	s_xor_b64 s[2:3], exec, s[2:3]
; %bb.10:
	v_and_b32_e32 v12, 0x1000000, v2
	v_mov_b32_e32 v13, 0
	v_cmp_eq_u64_e32 vcc, 0, v[12:13]
	v_cndmask_b32_e32 v10, v8, v11, vcc
	v_bfe_u32 v8, v2, 24, 1
	v_lshrrev_b64 v[2:3], v8, v[2:3]
; %bb.11:
	s_andn2_saveexec_b64 s[2:3], s[2:3]
; %bb.12:
	v_bfe_u32 v10, v2, 23, 1
; %bb.13:
	s_or_b64 exec, exec, s[2:3]
	s_lshl_b32 s2, -1, s18
	s_not_b32 s18, s2
	v_lshrrev_b64 v[2:3], s16, v[2:3]
	v_cmp_lt_i32_e32 vcc, s18, v10
	s_mov_b64 s[16:17], -1
                                        ; implicit-def: $vgpr8
	s_and_saveexec_b64 s[2:3], vcc
	s_cbranch_execz .LBB0_22
; %bb.14:
	s_and_b64 vcc, exec, s[14:15]
	s_cbranch_vccz .LBB0_17
; %bb.15:
	s_mov_b64 s[14:15], 0
	v_mov_b32_e32 v8, v9
	s_branch .LBB0_18
.LBB0_16:
                                        ; implicit-def: $vgpr8
	s_branch .LBB0_36
.LBB0_17:
	s_mov_b64 s[14:15], -1
                                        ; implicit-def: $vgpr8
.LBB0_18:
	s_andn2_b64 vcc, exec, s[14:15]
	s_cbranch_vccnz .LBB0_20
; %bb.19:
	s_lshl_b32 s14, -1, s7
	s_not_b32 s16, s14
	s_mov_b32 s17, 0
	s_mov_b64 s[14:15], -1
                                        ; implicit-def: $vgpr8
	s_branch .LBB0_21
.LBB0_20:
	s_mov_b64 s[14:15], 0
                                        ; implicit-def: $sgpr16_sgpr17
                                        ; implicit-def: $sgpr18
.LBB0_21:
	v_pk_mov_b32 v[2:3], s[16:17], s[16:17] op_sel:[0,1]
	v_mov_b32_e32 v10, s18
	s_orn2_b64 s[16:17], s[14:15], exec
.LBB0_22:
	s_or_b64 exec, exec, s[2:3]
	s_and_saveexec_b64 s[14:15], s[16:17]
	s_cbranch_execz .LBB0_28
; %bb.23:
	v_cmp_ne_u32_e32 vcc, 0, v10
	v_cmp_ne_u64_e64 s[2:3], 0, v[2:3]
	s_or_b64 s[2:3], vcc, s[2:3]
                                        ; implicit-def: $vgpr8
	s_and_saveexec_b64 s[16:17], s[2:3]
	s_xor_b64 s[2:3], exec, s[16:17]
; %bb.24:
	s_lshl_b32 s16, -1, s7
	s_not_b32 s16, s16
	v_lshl_or_b32 v3, v10, s7, v5
	v_and_or_b32 v8, v2, s16, v3
; %bb.25:
	s_andn2_saveexec_b64 s[2:3], s[2:3]
; %bb.26:
	v_mov_b32_e32 v8, v5
; %bb.27:
	s_or_b64 exec, exec, s[2:3]
.LBB0_28:
	s_or_b64 exec, exec, s[14:15]
.LBB0_29:
	s_or_b64 exec, exec, s[12:13]
                                        ; implicit-def: $vgpr9
.LBB0_30:
	s_andn2_saveexec_b64 s[2:3], s[10:11]
; %bb.31:
	v_mov_b32_e32 v8, v9
; %bb.32:
	s_or_b64 exec, exec, s[2:3]
                                        ; implicit-def: $vgpr9
.LBB0_33:
	s_andn2_saveexec_b64 s[2:3], s[4:5]
; %bb.34:
	s_movk_i32 s4, 0x7f
	v_or_b32_sdwa v2, v7, s4 dst_sel:DWORD dst_unused:UNUSED_PAD src0_sel:BYTE_3 src1_sel:DWORD
	v_cmp_eq_u64_e32 vcc, 0, v[0:1]
	v_cndmask_b32_e32 v8, v2, v9, vcc
; %bb.35:
	s_or_b64 exec, exec, s[2:3]
	s_cbranch_execnz .LBB0_60
.LBB0_36:
	s_movk_i32 s2, 0x7f
	v_or_b32_sdwa v2, v7, s2 dst_sel:DWORD dst_unused:UNUSED_PAD src0_sel:BYTE_3 src1_sel:DWORD
	v_mov_b32_e32 v3, 0x80
	v_cndmask_b32_e64 v8, v3, v2, s[0:1]
	v_and_b32_e32 v2, 0x7f800000, v7
	v_mov_b32_e32 v3, 0
	s_mov_b64 s[2:3], 0x7f800000
	v_cmp_ne_u64_e32 vcc, s[2:3], v[2:3]
	s_and_saveexec_b64 s[2:3], vcc
	s_xor_b64 s[4:5], exec, s[2:3]
	s_cbranch_execz .LBB0_59
; %bb.37:
	s_cmp_eq_u32 s6, 2
	s_cselect_b64 s[2:3], -1, 0
	s_mov_b32 s10, 0x43700000
	s_and_b64 s[6:7], s[2:3], exec
	s_cselect_b32 s6, s10, 0x47600000
	s_mov_b32 s7, 0
	v_and_b32_e32 v2, 0x7fffffff, v7
	v_cmp_ge_u64_e32 vcc, s[6:7], v[2:3]
	s_and_saveexec_b64 s[6:7], vcc
	s_xor_b64 s[6:7], exec, s[6:7]
	s_cbranch_execz .LBB0_58
; %bb.38:
	v_cmp_ne_u32_e32 vcc, 0, v7
	v_mov_b32_e32 v8, 0
	s_and_saveexec_b64 s[10:11], vcc
	s_cbranch_execz .LBB0_57
; %bb.39:
	s_and_b64 s[12:13], s[2:3], exec
	s_cselect_b32 s15, 4, 5
	s_add_i32 s12, s15, -1
	s_lshl_b32 s16, 1, s12
	v_cmp_ne_u32_e32 vcc, 0, v6
                                        ; implicit-def: $vgpr3
                                        ; implicit-def: $vgpr2
	s_and_saveexec_b64 s[12:13], vcc
	s_xor_b64 s[12:13], exec, s[12:13]
; %bb.40:
	s_sub_i32 s14, 1, s16
	v_add_u32_e32 v2, 0xffffff81, v6
	v_sub_u32_e32 v3, s14, v2
	v_cmp_ge_i32_e32 vcc, s14, v2
	v_cndmask_b32_e32 v3, 0, v3, vcc
	v_or_b32_e32 v0, 0x800000, v0
; %bb.41:
	s_andn2_saveexec_b64 s[12:13], s[12:13]
; %bb.42:
	s_sub_i32 s14, 0x7f, s16
	v_mov_b32_e32 v2, 0xffffff82
	v_mov_b32_e32 v3, s14
; %bb.43:
	s_or_b64 exec, exec, s[12:13]
	s_and_b64 s[2:3], s[2:3], exec
	s_cselect_b32 s14, 3, 2
	s_xor_b32 s12, s14, 23
	v_add_u32_e32 v8, s12, v3
	v_lshlrev_b64 v[6:7], v8, -1
	v_not_b32_e32 v7, v7
	v_not_b32_e32 v6, v6
	v_add_u32_e32 v8, -1, v8
	v_and_b32_e32 v7, v1, v7
	v_and_b32_e32 v6, v0, v6
	v_lshlrev_b64 v[8:9], v8, 1
	v_cmp_eq_u32_e64 s[2:3], -1, v3
	v_cmp_eq_u64_e32 vcc, v[6:7], v[8:9]
	v_cndmask_b32_e64 v8, 0, 1, s[2:3]
	v_lshrrev_b64 v[6:7], v3, v[0:1]
	v_lshlrev_b64 v[0:1], v8, v[0:1]
	v_cmp_lt_i32_e64 s[2:3], 0, v3
	v_cndmask_b32_e64 v8, v0, v6, s[2:3]
	v_cndmask_b32_e64 v7, v1, v7, s[2:3]
	v_add_u32_e32 v0, s16, v2
	v_bfe_u32 v1, v8, 23, 1
	s_lshl_b64 s[2:3], 1, s12
	v_add3_u32 v3, v0, v3, v1
	s_add_u32 s13, s2, -1
	v_and_b32_e32 v1, s3, v7
	v_and_b32_e32 v0, s2, v8
	s_addc_u32 s16, s3, -1
	v_cmp_eq_u64_e64 s[2:3], 0, v[0:1]
	s_and_b64 s[2:3], vcc, s[2:3]
	v_cndmask_b32_e64 v0, 0, 1, s[2:3]
	v_sub_co_u32_e32 v0, vcc, v8, v0
	v_subbrev_co_u32_e32 v1, vcc, 0, v7, vcc
	v_and_b32_e32 v0, s13, v0
	v_and_b32_e32 v1, s16, v1
	v_add_co_u32_e32 v0, vcc, v0, v8
	v_add_u32_e32 v6, -1, v3
	v_addc_co_u32_e32 v1, vcc, v1, v7, vcc
	v_cmp_ne_u32_e32 vcc, 0, v6
                                        ; implicit-def: $vgpr2
	s_and_saveexec_b64 s[2:3], vcc
	s_xor_b64 s[2:3], exec, s[2:3]
; %bb.44:
	v_and_b32_e32 v8, 0x1000000, v0
	v_mov_b32_e32 v9, 0
	v_cmp_eq_u64_e32 vcc, 0, v[8:9]
	v_cndmask_b32_e32 v2, v3, v6, vcc
	v_bfe_u32 v3, v0, 24, 1
	v_lshrrev_b64 v[0:1], v3, v[0:1]
; %bb.45:
	s_andn2_saveexec_b64 s[2:3], s[2:3]
; %bb.46:
	v_bfe_u32 v2, v0, 23, 1
; %bb.47:
	s_or_b64 exec, exec, s[2:3]
	s_lshl_b32 s2, -1, s15
	s_not_b32 s15, s2
	v_lshrrev_b64 v[0:1], s12, v[0:1]
	v_cmp_lt_i32_e32 vcc, s15, v2
	s_mov_b64 s[12:13], -1
                                        ; implicit-def: $sgpr16
	s_and_saveexec_b64 s[2:3], vcc
	s_cbranch_execz .LBB0_52
; %bb.48:
	s_and_b64 vcc, exec, s[0:1]
	s_cbranch_vccz .LBB0_50
; %bb.49:
	s_lshl_b32 s0, -1, s14
	s_not_b32 s0, s0
	s_mov_b32 s1, 0
	s_branch .LBB0_51
.LBB0_50:
	s_mov_b64 s[12:13], 0
                                        ; implicit-def: $sgpr0_sgpr1
                                        ; implicit-def: $sgpr15
.LBB0_51:
	s_movk_i32 s16, 0x80
	v_pk_mov_b32 v[0:1], s[0:1], s[0:1] op_sel:[0,1]
	v_mov_b32_e32 v2, s15
	s_orn2_b64 s[12:13], s[12:13], exec
.LBB0_52:
	s_or_b64 exec, exec, s[2:3]
	v_mov_b32_e32 v8, s16
	s_and_saveexec_b64 s[2:3], s[12:13]
	s_cbranch_execz .LBB0_56
; %bb.53:
	v_cmp_ne_u32_e32 vcc, 0, v2
	v_cmp_ne_u64_e64 s[0:1], 0, v[0:1]
	s_or_b64 s[12:13], vcc, s[0:1]
	v_mov_b32_e32 v8, 0
	s_and_saveexec_b64 s[0:1], s[12:13]
; %bb.54:
	s_lshl_b32 s12, -1, s14
	s_not_b32 s12, s12
	v_lshl_or_b32 v1, v2, s14, v5
	v_and_or_b32 v8, v0, s12, v1
; %bb.55:
	s_or_b64 exec, exec, s[0:1]
.LBB0_56:
	s_or_b64 exec, exec, s[2:3]
.LBB0_57:
	s_or_b64 exec, exec, s[10:11]
.LBB0_58:
	s_andn2_saveexec_b64 s[0:1], s[6:7]
	s_or_b64 exec, exec, s[0:1]
.LBB0_59:
	s_andn2_saveexec_b64 s[0:1], s[4:5]
	s_or_b64 exec, exec, s[0:1]
.LBB0_60:
	v_cvt_f32_ubyte0_e32 v0, v8
	global_store_dword v4, v0, s[8:9]
.LBB0_61:
	s_endpgm
	.section	.rodata,"a",@progbits
	.p2align	6, 0x0
	.amdhsa_kernel _Z21float_to_fp8_to_floatPf26__hip_fp8_interpretation_t18__hip_saturation_tS_m
		.amdhsa_group_segment_fixed_size 0
		.amdhsa_private_segment_fixed_size 0
		.amdhsa_kernarg_size 32
		.amdhsa_user_sgpr_count 6
		.amdhsa_user_sgpr_private_segment_buffer 1
		.amdhsa_user_sgpr_dispatch_ptr 0
		.amdhsa_user_sgpr_queue_ptr 0
		.amdhsa_user_sgpr_kernarg_segment_ptr 1
		.amdhsa_user_sgpr_dispatch_id 0
		.amdhsa_user_sgpr_flat_scratch_init 0
		.amdhsa_user_sgpr_kernarg_preload_length 0
		.amdhsa_user_sgpr_kernarg_preload_offset 0
		.amdhsa_user_sgpr_private_segment_size 0
		.amdhsa_uses_dynamic_stack 0
		.amdhsa_system_sgpr_private_segment_wavefront_offset 0
		.amdhsa_system_sgpr_workgroup_id_x 1
		.amdhsa_system_sgpr_workgroup_id_y 0
		.amdhsa_system_sgpr_workgroup_id_z 0
		.amdhsa_system_sgpr_workgroup_info 0
		.amdhsa_system_vgpr_workitem_id 0
		.amdhsa_next_free_vgpr 16
		.amdhsa_next_free_sgpr 20
		.amdhsa_accum_offset 16
		.amdhsa_reserve_vcc 1
		.amdhsa_reserve_flat_scratch 0
		.amdhsa_float_round_mode_32 0
		.amdhsa_float_round_mode_16_64 0
		.amdhsa_float_denorm_mode_32 3
		.amdhsa_float_denorm_mode_16_64 3
		.amdhsa_dx10_clamp 1
		.amdhsa_ieee_mode 1
		.amdhsa_fp16_overflow 0
		.amdhsa_tg_split 0
		.amdhsa_exception_fp_ieee_invalid_op 0
		.amdhsa_exception_fp_denorm_src 0
		.amdhsa_exception_fp_ieee_div_zero 0
		.amdhsa_exception_fp_ieee_overflow 0
		.amdhsa_exception_fp_ieee_underflow 0
		.amdhsa_exception_fp_ieee_inexact 0
		.amdhsa_exception_int_div_zero 0
	.end_amdhsa_kernel
	.text
.Lfunc_end0:
	.size	_Z21float_to_fp8_to_floatPf26__hip_fp8_interpretation_t18__hip_saturation_tS_m, .Lfunc_end0-_Z21float_to_fp8_to_floatPf26__hip_fp8_interpretation_t18__hip_saturation_tS_m
                                        ; -- End function
	.section	.AMDGPU.csdata,"",@progbits
; Kernel info:
; codeLenInByte = 1536
; NumSgprs: 24
; NumVgprs: 16
; NumAgprs: 0
; TotalNumVgprs: 16
; ScratchSize: 0
; MemoryBound: 0
; FloatMode: 240
; IeeeMode: 1
; LDSByteSize: 0 bytes/workgroup (compile time only)
; SGPRBlocks: 2
; VGPRBlocks: 1
; NumSGPRsForWavesPerEU: 24
; NumVGPRsForWavesPerEU: 16
; AccumOffset: 16
; Occupancy: 8
; WaveLimiterHint : 0
; COMPUTE_PGM_RSRC2:SCRATCH_EN: 0
; COMPUTE_PGM_RSRC2:USER_SGPR: 6
; COMPUTE_PGM_RSRC2:TRAP_HANDLER: 0
; COMPUTE_PGM_RSRC2:TGID_X_EN: 1
; COMPUTE_PGM_RSRC2:TGID_Y_EN: 0
; COMPUTE_PGM_RSRC2:TGID_Z_EN: 0
; COMPUTE_PGM_RSRC2:TIDIG_COMP_CNT: 0
; COMPUTE_PGM_RSRC3_GFX90A:ACCUM_OFFSET: 3
; COMPUTE_PGM_RSRC3_GFX90A:TG_SPLIT: 0
	.text
	.p2alignl 6, 3212836864
	.fill 256, 4, 3212836864
	.type	__hip_cuid_4e3d9ef7579a57d4,@object ; @__hip_cuid_4e3d9ef7579a57d4
	.section	.bss,"aw",@nobits
	.globl	__hip_cuid_4e3d9ef7579a57d4
__hip_cuid_4e3d9ef7579a57d4:
	.byte	0                               ; 0x0
	.size	__hip_cuid_4e3d9ef7579a57d4, 1

	.ident	"AMD clang version 19.0.0git (https://github.com/RadeonOpenCompute/llvm-project roc-6.4.0 25133 c7fe45cf4b819c5991fe208aaa96edf142730f1d)"
	.section	".note.GNU-stack","",@progbits
	.addrsig
	.addrsig_sym __hip_cuid_4e3d9ef7579a57d4
	.amdgpu_metadata
---
amdhsa.kernels:
  - .agpr_count:     0
    .args:
      - .address_space:  global
        .offset:         0
        .size:           8
        .value_kind:     global_buffer
      - .offset:         8
        .size:           4
        .value_kind:     by_value
      - .offset:         12
        .size:           4
        .value_kind:     by_value
      - .address_space:  global
        .offset:         16
        .size:           8
        .value_kind:     global_buffer
      - .offset:         24
        .size:           8
        .value_kind:     by_value
    .group_segment_fixed_size: 0
    .kernarg_segment_align: 8
    .kernarg_segment_size: 32
    .language:       OpenCL C
    .language_version:
      - 2
      - 0
    .max_flat_workgroup_size: 1024
    .name:           _Z21float_to_fp8_to_floatPf26__hip_fp8_interpretation_t18__hip_saturation_tS_m
    .private_segment_fixed_size: 0
    .sgpr_count:     24
    .sgpr_spill_count: 0
    .symbol:         _Z21float_to_fp8_to_floatPf26__hip_fp8_interpretation_t18__hip_saturation_tS_m.kd
    .uniform_work_group_size: 1
    .uses_dynamic_stack: false
    .vgpr_count:     16
    .vgpr_spill_count: 0
    .wavefront_size: 64
amdhsa.target:   amdgcn-amd-amdhsa--gfx90a
amdhsa.version:
  - 1
  - 2
...

	.end_amdgpu_metadata
